;; amdgpu-corpus repo=ROCm/rocFFT kind=compiled arch=gfx906 opt=O3
	.text
	.amdgcn_target "amdgcn-amd-amdhsa--gfx906"
	.amdhsa_code_object_version 6
	.protected	fft_rtc_fwd_len168_factors_2_3_4_7_wgs_196_tpt_14_dim3_sp_ip_CI_sbcc_twdbase8_3step_dirReg ; -- Begin function fft_rtc_fwd_len168_factors_2_3_4_7_wgs_196_tpt_14_dim3_sp_ip_CI_sbcc_twdbase8_3step_dirReg
	.globl	fft_rtc_fwd_len168_factors_2_3_4_7_wgs_196_tpt_14_dim3_sp_ip_CI_sbcc_twdbase8_3step_dirReg
	.p2align	8
	.type	fft_rtc_fwd_len168_factors_2_3_4_7_wgs_196_tpt_14_dim3_sp_ip_CI_sbcc_twdbase8_3step_dirReg,@function
fft_rtc_fwd_len168_factors_2_3_4_7_wgs_196_tpt_14_dim3_sp_ip_CI_sbcc_twdbase8_3step_dirReg: ; @fft_rtc_fwd_len168_factors_2_3_4_7_wgs_196_tpt_14_dim3_sp_ip_CI_sbcc_twdbase8_3step_dirReg
; %bb.0:
	s_load_dwordx4 s[0:3], s[4:5], 0x10
	s_mov_b32 s7, 0
	s_mov_b64 s[20:21], 0
	s_waitcnt lgkmcnt(0)
	s_load_dwordx2 s[10:11], s[0:1], 0x8
	s_waitcnt lgkmcnt(0)
	s_add_u32 s8, s10, -1
	s_addc_u32 s9, s11, -1
	s_add_u32 s12, 0, 0x49240800
	s_addc_u32 s13, 0, 50
	s_mul_hi_u32 s15, s12, -14
	s_add_i32 s13, s13, 0x12492460
	s_sub_i32 s15, s15, s12
	s_mul_i32 s18, s13, -14
	s_mul_i32 s14, s12, -14
	s_add_i32 s15, s15, s18
	s_mul_hi_u32 s16, s13, s14
	s_mul_i32 s17, s13, s14
	s_mul_i32 s19, s12, s15
	s_mul_hi_u32 s14, s12, s14
	s_mul_hi_u32 s18, s12, s15
	s_add_u32 s14, s14, s19
	s_addc_u32 s18, 0, s18
	s_add_u32 s14, s14, s17
	s_mul_hi_u32 s19, s13, s15
	s_addc_u32 s14, s18, s16
	s_addc_u32 s16, s19, 0
	s_mul_i32 s15, s13, s15
	s_add_u32 s14, s14, s15
	v_mov_b32_e32 v1, s14
	s_addc_u32 s15, 0, s16
	v_add_co_u32_e32 v1, vcc, s12, v1
	s_cmp_lg_u64 vcc, 0
	s_addc_u32 s12, s13, s15
	v_readfirstlane_b32 s15, v1
	s_mul_i32 s14, s8, s12
	s_mul_hi_u32 s16, s8, s15
	s_mul_hi_u32 s13, s8, s12
	s_add_u32 s14, s16, s14
	s_addc_u32 s13, 0, s13
	s_mul_hi_u32 s17, s9, s15
	s_mul_i32 s15, s9, s15
	s_add_u32 s14, s14, s15
	s_mul_hi_u32 s16, s9, s12
	s_addc_u32 s13, s13, s17
	s_addc_u32 s14, s16, 0
	s_mul_i32 s12, s9, s12
	s_add_u32 s12, s13, s12
	s_addc_u32 s13, 0, s14
	s_add_u32 s14, s12, 1
	s_addc_u32 s15, s13, 0
	s_add_u32 s16, s12, 2
	s_mul_i32 s18, s13, 14
	s_mul_hi_u32 s19, s12, 14
	s_addc_u32 s17, s13, 0
	s_add_i32 s19, s19, s18
	s_mul_i32 s18, s12, 14
	v_mov_b32_e32 v1, s18
	v_sub_co_u32_e32 v1, vcc, s8, v1
	s_cmp_lg_u64 vcc, 0
	s_subb_u32 s8, s9, s19
	v_subrev_co_u32_e32 v2, vcc, 14, v1
	s_cmp_lg_u64 vcc, 0
	s_subb_u32 s9, s8, 0
	v_readfirstlane_b32 s18, v2
	s_cmp_gt_u32 s18, 13
	s_cselect_b32 s18, -1, 0
	s_cmp_eq_u32 s9, 0
	s_cselect_b32 s9, s18, -1
	s_cmp_lg_u32 s9, 0
	s_cselect_b32 s9, s16, s14
	s_cselect_b32 s14, s17, s15
	v_readfirstlane_b32 s15, v1
	s_cmp_gt_u32 s15, 13
	s_cselect_b32 s15, -1, 0
	s_cmp_eq_u32 s8, 0
	s_cselect_b32 s8, s15, -1
	s_cmp_lg_u32 s8, 0
	s_cselect_b32 s9, s9, s12
	s_cselect_b32 s8, s14, s13
	s_add_u32 s18, s9, 1
	s_addc_u32 s19, s8, 0
	v_mov_b32_e32 v1, s18
	v_mov_b32_e32 v2, s19
	v_cmp_lt_u64_e32 vcc, s[6:7], v[1:2]
	s_cbranch_vccnz .LBB0_2
; %bb.1:
	v_cvt_f32_u32_e32 v1, s18
	s_sub_i32 s8, 0, s18
	s_mov_b32 s21, s7
	v_rcp_iflag_f32_e32 v1, v1
	v_mul_f32_e32 v1, 0x4f7ffffe, v1
	v_cvt_u32_f32_e32 v1, v1
	v_readfirstlane_b32 s9, v1
	s_mul_i32 s8, s8, s9
	s_mul_hi_u32 s8, s9, s8
	s_add_i32 s9, s9, s8
	s_mul_hi_u32 s8, s6, s9
	s_mul_i32 s12, s8, s18
	s_sub_i32 s12, s6, s12
	s_add_i32 s9, s8, 1
	s_sub_i32 s13, s12, s18
	s_cmp_ge_u32 s12, s18
	s_cselect_b32 s8, s9, s8
	s_cselect_b32 s12, s13, s12
	s_add_i32 s9, s8, 1
	s_cmp_ge_u32 s12, s18
	s_cselect_b32 s20, s9, s8
.LBB0_2:
	s_load_dwordx2 s[8:9], s[0:1], 0x10
	s_load_dwordx2 s[12:13], s[2:3], 0x8
	s_mov_b64 s[0:1], s[20:21]
	s_waitcnt lgkmcnt(0)
	v_mov_b32_e32 v1, s8
	v_mov_b32_e32 v2, s9
	v_cmp_lt_u64_e32 vcc, s[20:21], v[1:2]
	s_cbranch_vccnz .LBB0_4
; %bb.3:
	v_cvt_f32_u32_e32 v1, s8
	s_sub_i32 s0, 0, s8
	v_rcp_iflag_f32_e32 v1, v1
	v_mul_f32_e32 v1, 0x4f7ffffe, v1
	v_cvt_u32_f32_e32 v1, v1
	v_readfirstlane_b32 s1, v1
	s_mul_i32 s0, s0, s1
	s_mul_hi_u32 s0, s1, s0
	s_add_i32 s1, s1, s0
	s_mul_hi_u32 s0, s20, s1
	s_mul_i32 s0, s0, s8
	s_sub_i32 s0, s20, s0
	s_sub_i32 s1, s0, s8
	s_cmp_ge_u32 s0, s8
	s_cselect_b32 s0, s1, s0
	s_sub_i32 s1, s0, s8
	s_cmp_ge_u32 s0, s8
	s_cselect_b32 s0, s1, s0
.LBB0_4:
	s_mul_i32 s1, s8, s19
	s_mul_hi_u32 s16, s8, s18
	s_add_i32 s1, s16, s1
	s_mul_i32 s9, s9, s18
	s_mul_i32 s16, s8, s18
	s_load_dwordx2 s[14:15], s[4:5], 0x50
	s_add_i32 s17, s1, s9
	s_load_dwordx2 s[8:9], s[2:3], 0x0
	s_load_dwordx2 s[22:23], s[2:3], 0x10
	v_mov_b32_e32 v1, s16
	v_mov_b32_e32 v2, s17
	v_cmp_lt_u64_e32 vcc, s[6:7], v[1:2]
	s_mov_b64 s[24:25], 0
	s_cbranch_vccnz .LBB0_6
; %bb.5:
	v_cvt_f32_u32_e32 v1, s16
	s_sub_i32 s1, 0, s16
	v_rcp_iflag_f32_e32 v1, v1
	v_mul_f32_e32 v1, 0x4f7ffffe, v1
	v_cvt_u32_f32_e32 v1, v1
	v_readfirstlane_b32 s7, v1
	s_mul_i32 s1, s1, s7
	s_mul_hi_u32 s1, s7, s1
	s_add_i32 s7, s7, s1
	s_mul_hi_u32 s1, s6, s7
	s_mul_i32 s17, s1, s16
	s_sub_i32 s17, s6, s17
	s_add_i32 s7, s1, 1
	s_sub_i32 s21, s17, s16
	s_cmp_ge_u32 s17, s16
	s_cselect_b32 s1, s7, s1
	s_cselect_b32 s17, s21, s17
	s_add_i32 s7, s1, 1
	s_cmp_ge_u32 s17, s16
	s_cselect_b32 s24, s7, s1
.LBB0_6:
	s_mul_i32 s1, s20, s19
	s_mul_hi_u32 s7, s20, s18
	s_add_i32 s7, s7, s1
	s_mul_i32 s1, s20, s18
	s_sub_u32 s1, s6, s1
	s_subb_u32 s6, 0, s7
	s_mul_i32 s6, s6, 14
	s_mul_hi_u32 s7, s1, 14
	s_add_i32 s18, s7, s6
	s_mul_i32 s1, s1, 14
	s_load_dwordx2 s[2:3], s[2:3], 0x18
	s_mul_i32 s6, s12, s18
	s_mul_hi_u32 s7, s12, s1
	s_add_i32 s6, s7, s6
	s_mul_i32 s7, s13, s1
	s_waitcnt lgkmcnt(0)
	s_mul_i32 s19, s23, s0
	s_mul_hi_u32 s20, s22, s0
	s_add_i32 s6, s6, s7
	s_mul_i32 s7, s12, s1
	s_add_i32 s20, s20, s19
	s_mul_i32 s0, s22, s0
	s_add_u32 s0, s0, s7
	v_mul_u32_u24_e32 v1, 0x124a, v0
	s_addc_u32 s7, s20, s6
	s_mul_i32 s3, s3, s24
	s_mul_hi_u32 s6, s2, s24
	v_lshrrev_b32_e32 v86, 16, v1
	s_add_i32 s3, s6, s3
	s_mul_i32 s2, s2, s24
	v_mul_lo_u16_e32 v1, 14, v86
	s_add_u32 s6, s2, s0
	v_sub_u16_e32 v88, v0, v1
	s_addc_u32 s7, s3, s7
	v_mov_b32_e32 v1, s18
	v_add_co_u32_e32 v12, vcc, s1, v88
	s_load_dwordx2 s[16:17], s[4:5], 0x0
	v_addc_co_u32_e32 v13, vcc, 0, v1, vcc
	s_add_u32 s0, s1, 14
	v_mov_b32_e32 v1, s10
	s_addc_u32 s1, s18, 0
	v_mov_b32_e32 v2, s11
	v_cmp_gt_u64_e32 vcc, s[0:1], v[1:2]
	v_cmp_le_u64_e64 s[0:1], s[0:1], v[1:2]
	s_and_b64 vcc, exec, vcc
	v_add_u32_e32 v28, 14, v86
	v_add_u32_e32 v29, 28, v86
	v_add_u32_e32 v30, 42, v86
	v_add_u32_e32 v31, 56, v86
	s_cbranch_vccnz .LBB0_8
; %bb.7:
	v_mad_u64_u32 v[1:2], s[2:3], s12, v88, 0
	v_mad_u64_u32 v[3:4], s[2:3], s8, v86, 0
	v_add_u32_e32 v8, 0x54, v86
	v_add_u32_e32 v87, 14, v86
	v_mad_u64_u32 v[5:6], s[2:3], s13, v88, v[2:3]
	v_mov_b32_e32 v2, v4
	v_mad_u64_u32 v[6:7], s[2:3], s9, v86, v[2:3]
	s_lshl_b64 s[2:3], s[6:7], 3
	s_add_u32 s18, s14, s2
	s_addc_u32 s2, s15, s3
	v_mov_b32_e32 v2, v5
	v_mov_b32_e32 v4, v6
	v_mov_b32_e32 v7, s2
	v_mad_u64_u32 v[5:6], s[2:3], s8, v8, 0
	v_lshlrev_b64 v[1:2], 3, v[1:2]
	v_add_u32_e32 v11, 28, v86
	v_add_co_u32_e32 v9, vcc, s18, v1
	v_addc_co_u32_e32 v10, vcc, v7, v2, vcc
	v_lshlrev_b64 v[1:2], 3, v[3:4]
	v_mov_b32_e32 v3, v6
	v_mad_u64_u32 v[3:4], s[2:3], s9, v8, v[3:4]
	v_mad_u64_u32 v[7:8], s[2:3], s8, v87, 0
	v_add_co_u32_e32 v34, vcc, v9, v1
	v_mov_b32_e32 v6, v3
	v_mov_b32_e32 v3, v8
	v_addc_co_u32_e32 v35, vcc, v10, v2, vcc
	v_lshlrev_b64 v[1:2], 3, v[5:6]
	v_mad_u64_u32 v[3:4], s[2:3], s9, v87, v[3:4]
	v_add_u32_e32 v6, 0x62, v86
	v_mad_u64_u32 v[4:5], s[2:3], s8, v6, 0
	v_mov_b32_e32 v8, v3
	v_add_co_u32_e32 v36, vcc, v9, v1
	v_mov_b32_e32 v3, v5
	v_mad_u64_u32 v[5:6], s[2:3], s9, v6, v[3:4]
	v_addc_co_u32_e32 v37, vcc, v10, v2, vcc
	v_lshlrev_b64 v[1:2], 3, v[7:8]
	v_mad_u64_u32 v[6:7], s[2:3], s8, v11, 0
	v_add_co_u32_e32 v38, vcc, v9, v1
	v_mov_b32_e32 v3, v7
	v_addc_co_u32_e32 v39, vcc, v10, v2, vcc
	v_lshlrev_b64 v[1:2], 3, v[4:5]
	v_mad_u64_u32 v[3:4], s[2:3], s9, v11, v[3:4]
	v_add_u32_e32 v8, 0x70, v86
	v_mad_u64_u32 v[4:5], s[2:3], s8, v8, 0
	v_add_co_u32_e32 v40, vcc, v9, v1
	v_mov_b32_e32 v7, v3
	v_mov_b32_e32 v3, v5
	v_addc_co_u32_e32 v41, vcc, v10, v2, vcc
	v_lshlrev_b64 v[1:2], 3, v[6:7]
	v_mad_u64_u32 v[5:6], s[2:3], s9, v8, v[3:4]
	v_add_u32_e32 v32, 42, v86
	v_mad_u64_u32 v[6:7], s[2:3], s8, v32, 0
	v_add_co_u32_e32 v42, vcc, v9, v1
	v_mov_b32_e32 v3, v7
	v_addc_co_u32_e32 v43, vcc, v10, v2, vcc
	v_lshlrev_b64 v[1:2], 3, v[4:5]
	v_mad_u64_u32 v[3:4], s[2:3], s9, v32, v[3:4]
	v_add_u32_e32 v8, 0x7e, v86
	v_mad_u64_u32 v[4:5], s[2:3], s8, v8, 0
	v_add_co_u32_e32 v44, vcc, v9, v1
	v_mov_b32_e32 v7, v3
	v_mov_b32_e32 v3, v5
	v_addc_co_u32_e32 v45, vcc, v10, v2, vcc
	v_lshlrev_b64 v[1:2], 3, v[6:7]
	v_mad_u64_u32 v[5:6], s[2:3], s9, v8, v[3:4]
	v_add_u32_e32 v33, 56, v86
	v_mad_u64_u32 v[6:7], s[2:3], s8, v33, 0
	v_add_co_u32_e32 v46, vcc, v9, v1
	v_mov_b32_e32 v3, v7
	v_addc_co_u32_e32 v47, vcc, v10, v2, vcc
	v_lshlrev_b64 v[1:2], 3, v[4:5]
	v_mad_u64_u32 v[3:4], s[2:3], s9, v33, v[3:4]
	v_add_u32_e32 v8, 0x8c, v86
	v_mad_u64_u32 v[4:5], s[2:3], s8, v8, 0
	v_add_co_u32_e32 v48, vcc, v9, v1
	v_mov_b32_e32 v7, v3
	v_mov_b32_e32 v3, v5
	v_addc_co_u32_e32 v49, vcc, v10, v2, vcc
	v_lshlrev_b64 v[1:2], 3, v[6:7]
	v_mad_u64_u32 v[5:6], s[2:3], s9, v8, v[3:4]
	v_add_u32_e32 v8, 0x46, v86
	v_mad_u64_u32 v[6:7], s[2:3], s8, v8, 0
	v_add_co_u32_e32 v50, vcc, v9, v1
	v_mov_b32_e32 v3, v7
	v_addc_co_u32_e32 v51, vcc, v10, v2, vcc
	v_lshlrev_b64 v[1:2], 3, v[4:5]
	v_mad_u64_u32 v[3:4], s[2:3], s9, v8, v[3:4]
	v_add_u32_e32 v8, 0x9a, v86
	v_mad_u64_u32 v[4:5], s[2:3], s8, v8, 0
	v_add_co_u32_e32 v52, vcc, v9, v1
	v_mov_b32_e32 v7, v3
	v_mov_b32_e32 v3, v5
	v_addc_co_u32_e32 v53, vcc, v10, v2, vcc
	v_lshlrev_b64 v[1:2], 3, v[6:7]
	v_mad_u64_u32 v[5:6], s[2:3], s9, v8, v[3:4]
	v_add_co_u32_e32 v54, vcc, v9, v1
	v_addc_co_u32_e32 v55, vcc, v10, v2, vcc
	v_lshlrev_b64 v[1:2], 3, v[4:5]
	v_add_co_u32_e32 v56, vcc, v9, v1
	v_addc_co_u32_e32 v57, vcc, v10, v2, vcc
	global_load_dwordx2 v[5:6], v[34:35], off
	global_load_dwordx2 v[7:8], v[36:37], off
	;; [unrolled: 1-line block ×12, first 2 shown]
	s_cbranch_execz .LBB0_9
	s_branch .LBB0_14
.LBB0_8:
                                        ; implicit-def: $vgpr1
                                        ; implicit-def: $vgpr22
                                        ; implicit-def: $vgpr20
                                        ; implicit-def: $vgpr26
                                        ; implicit-def: $vgpr24
                                        ; implicit-def: $vgpr14
                                        ; implicit-def: $vgpr9
                                        ; implicit-def: $vgpr16
                                        ; implicit-def: $vgpr87
                                        ; implicit-def: $vgpr11
                                        ; implicit-def: $vgpr32
                                        ; implicit-def: $vgpr33
                                        ; implicit-def: $vgpr18
                                        ; implicit-def: $vgpr3
                                        ; implicit-def: $vgpr7
                                        ; implicit-def: $vgpr5
.LBB0_9:
	v_cmp_le_u64_e32 vcc, s[10:11], v[12:13]
                                        ; implicit-def: $vgpr87
                                        ; implicit-def: $vgpr11
                                        ; implicit-def: $vgpr32
                                        ; implicit-def: $vgpr33
	s_and_saveexec_b64 s[2:3], vcc
	s_xor_b64 s[2:3], exec, s[2:3]
; %bb.10:
	v_add_u32_e32 v87, 14, v86
	v_add_u32_e32 v11, 28, v86
	v_add_u32_e32 v32, 42, v86
	v_add_u32_e32 v33, 56, v86
                                        ; implicit-def: $vgpr28
                                        ; implicit-def: $vgpr29
                                        ; implicit-def: $vgpr30
                                        ; implicit-def: $vgpr31
; %bb.11:
	s_or_saveexec_b64 s[2:3], s[2:3]
                                        ; implicit-def: $vgpr1
                                        ; implicit-def: $vgpr22
                                        ; implicit-def: $vgpr20
                                        ; implicit-def: $vgpr26
                                        ; implicit-def: $vgpr24
                                        ; implicit-def: $vgpr14
                                        ; implicit-def: $vgpr9
                                        ; implicit-def: $vgpr16
                                        ; implicit-def: $vgpr18
                                        ; implicit-def: $vgpr3
                                        ; implicit-def: $vgpr7
                                        ; implicit-def: $vgpr5
	s_xor_b64 exec, exec, s[2:3]
	s_cbranch_execz .LBB0_13
; %bb.12:
	s_waitcnt vmcnt(8)
	v_mad_u64_u32 v[1:2], s[18:19], s12, v88, 0
	v_mad_u64_u32 v[3:4], s[18:19], s8, v86, 0
	v_add_u32_e32 v8, 0x54, v86
	s_waitcnt vmcnt(3)
	v_add_u32_e32 v25, 0x70, v86
	v_mad_u64_u32 v[5:6], s[18:19], s13, v88, v[2:3]
	v_mov_b32_e32 v2, v4
	v_mad_u64_u32 v[6:7], s[18:19], s9, v86, v[2:3]
	s_lshl_b64 s[18:19], s[6:7], 3
	s_add_u32 s20, s14, s18
	s_addc_u32 s18, s15, s19
	v_mov_b32_e32 v2, v5
	v_mov_b32_e32 v4, v6
	;; [unrolled: 1-line block ×3, first 2 shown]
	v_mad_u64_u32 v[5:6], s[18:19], s8, v8, 0
	v_lshlrev_b64 v[1:2], 3, v[1:2]
	v_mad_u64_u32 v[18:19], s[18:19], s8, v29, 0
	v_add_co_u32_e32 v38, vcc, s20, v1
	v_addc_co_u32_e32 v39, vcc, v7, v2, vcc
	v_lshlrev_b64 v[1:2], 3, v[3:4]
	v_mov_b32_e32 v3, v6
	v_mad_u64_u32 v[3:4], s[18:19], s9, v8, v[3:4]
	v_mad_u64_u32 v[7:8], s[18:19], s8, v28, 0
	v_add_co_u32_e32 v9, vcc, v38, v1
	v_mov_b32_e32 v6, v3
	v_mov_b32_e32 v3, v8
	v_addc_co_u32_e32 v10, vcc, v39, v2, vcc
	v_lshlrev_b64 v[1:2], 3, v[5:6]
	v_mad_u64_u32 v[3:4], s[18:19], s9, v28, v[3:4]
	v_add_u32_e32 v6, 0x62, v86
	v_mad_u64_u32 v[4:5], s[18:19], s8, v6, 0
	v_mov_b32_e32 v8, v3
	v_add_co_u32_e32 v14, vcc, v38, v1
	v_mov_b32_e32 v3, v5
	v_mad_u64_u32 v[5:6], s[18:19], s9, v6, v[3:4]
	v_addc_co_u32_e32 v15, vcc, v39, v2, vcc
	v_lshlrev_b64 v[1:2], 3, v[7:8]
	s_waitcnt vmcnt(2)
	v_mad_u64_u32 v[26:27], s[18:19], s8, v31, 0
	v_add_co_u32_e32 v16, vcc, v38, v1
	v_addc_co_u32_e32 v17, vcc, v39, v2, vcc
	v_lshlrev_b64 v[1:2], 3, v[4:5]
	v_add_u32_e32 v37, 0x8c, v86
	s_waitcnt vmcnt(1)
	v_add_co_u32_e32 v20, vcc, v38, v1
	v_mov_b32_e32 v1, v19
	s_waitcnt vmcnt(0)
	v_mad_u64_u32 v[22:23], s[18:19], s9, v29, v[1:2]
	v_mad_u64_u32 v[23:24], s[18:19], s8, v25, 0
	v_addc_co_u32_e32 v21, vcc, v39, v2, vcc
	v_mov_b32_e32 v11, v24
	global_load_dwordx2 v[5:6], v[9:10], off
	global_load_dwordx2 v[7:8], v[14:15], off
	;; [unrolled: 1-line block ×4, first 2 shown]
	v_mad_u64_u32 v[14:15], s[18:19], s9, v25, v[11:12]
	v_mad_u64_u32 v[15:16], s[18:19], s8, v30, 0
	v_mov_b32_e32 v19, v22
	v_lshlrev_b64 v[9:10], 3, v[18:19]
	v_mov_b32_e32 v11, v16
	v_mov_b32_e32 v24, v14
	v_mad_u64_u32 v[16:17], s[18:19], s9, v30, v[11:12]
	v_add_u32_e32 v14, 0x7e, v86
	v_mad_u64_u32 v[17:18], s[18:19], s8, v14, 0
	v_add_co_u32_e32 v20, vcc, v38, v9
	v_addc_co_u32_e32 v21, vcc, v39, v10, vcc
	v_lshlrev_b64 v[9:10], 3, v[23:24]
	v_mov_b32_e32 v11, v18
	v_add_co_u32_e32 v22, vcc, v38, v9
	v_addc_co_u32_e32 v23, vcc, v39, v10, vcc
	v_lshlrev_b64 v[9:10], 3, v[15:16]
	v_mad_u64_u32 v[14:15], s[18:19], s9, v14, v[11:12]
	v_add_co_u32_e32 v24, vcc, v38, v9
	v_mov_b32_e32 v18, v14
	v_addc_co_u32_e32 v25, vcc, v39, v10, vcc
	v_lshlrev_b64 v[9:10], 3, v[17:18]
	v_mov_b32_e32 v87, v28
	v_add_co_u32_e32 v32, vcc, v38, v9
	v_mov_b32_e32 v9, v27
	v_mad_u64_u32 v[34:35], s[18:19], s9, v31, v[9:10]
	v_mad_u64_u32 v[35:36], s[18:19], s8, v37, 0
	v_addc_co_u32_e32 v33, vcc, v39, v10, vcc
	v_mov_b32_e32 v11, v36
	global_load_dwordx2 v[18:19], v[20:21], off
	global_load_dwordx2 v[16:17], v[22:23], off
	;; [unrolled: 1-line block ×4, first 2 shown]
	v_mad_u64_u32 v[22:23], s[18:19], s9, v37, v[11:12]
	v_add_u32_e32 v25, 0x46, v86
	v_mad_u64_u32 v[23:24], s[18:19], s8, v25, 0
	v_mov_b32_e32 v27, v34
	v_lshlrev_b64 v[20:21], 3, v[26:27]
	v_mov_b32_e32 v11, v24
	v_mov_b32_e32 v36, v22
	v_mad_u64_u32 v[24:25], s[18:19], s9, v25, v[11:12]
	v_add_u32_e32 v22, 0x9a, v86
	v_mad_u64_u32 v[25:26], s[18:19], s8, v22, 0
	v_add_co_u32_e32 v32, vcc, v38, v20
	v_addc_co_u32_e32 v33, vcc, v39, v21, vcc
	v_lshlrev_b64 v[20:21], 3, v[35:36]
	v_mov_b32_e32 v11, v26
	v_add_co_u32_e32 v34, vcc, v38, v20
	v_addc_co_u32_e32 v35, vcc, v39, v21, vcc
	v_lshlrev_b64 v[20:21], 3, v[23:24]
	v_mad_u64_u32 v[22:23], s[18:19], s9, v22, v[11:12]
	v_add_co_u32_e32 v36, vcc, v38, v20
	v_mov_b32_e32 v26, v22
	v_addc_co_u32_e32 v37, vcc, v39, v21, vcc
	v_lshlrev_b64 v[20:21], 3, v[25:26]
	v_mov_b32_e32 v11, v29
	v_add_co_u32_e32 v38, vcc, v38, v20
	v_addc_co_u32_e32 v39, vcc, v39, v21, vcc
	global_load_dwordx2 v[24:25], v[32:33], off
	global_load_dwordx2 v[26:27], v[34:35], off
	;; [unrolled: 1-line block ×4, first 2 shown]
	v_mov_b32_e32 v32, v30
	v_mov_b32_e32 v33, v31
.LBB0_13:
	s_or_b64 exec, exec, s[2:3]
.LBB0_14:
	s_waitcnt vmcnt(10)
	v_sub_f32_e32 v7, v5, v7
	v_sub_f32_e32 v8, v6, v8
	s_waitcnt vmcnt(8)
	v_sub_f32_e32 v28, v3, v1
	v_sub_f32_e32 v29, v4, v2
	v_mul_u32_u24_e32 v1, 0xe0, v86
	v_lshlrev_b32_e32 v2, 3, v88
	v_fma_f32 v5, v5, 2.0, -v7
	v_fma_f32 v6, v6, 2.0, -v8
	v_add3_u32 v1, 0, v1, v2
	ds_write2_b64 v1, v[5:6], v[7:8] offset1:14
	v_mul_i32_i24_e32 v5, 0xe0, v87
	v_fma_f32 v3, v3, 2.0, -v28
	v_fma_f32 v4, v4, 2.0, -v29
	v_add3_u32 v5, 0, v5, v2
	s_waitcnt vmcnt(6)
	v_sub_f32_e32 v16, v18, v16
	v_sub_f32_e32 v17, v19, v17
	ds_write2_b64 v5, v[3:4], v[28:29] offset1:14
	v_mul_i32_i24_e32 v3, 0xe0, v11
	v_fma_f32 v18, v18, 2.0, -v16
	v_fma_f32 v19, v19, 2.0, -v17
	v_add3_u32 v3, 0, v3, v2
	s_waitcnt vmcnt(4)
	v_sub_f32_e32 v14, v9, v14
	v_sub_f32_e32 v15, v10, v15
	;; [unrolled: 8-line block ×3, first 2 shown]
	s_waitcnt vmcnt(0)
	v_sub_f32_e32 v22, v20, v22
	v_sub_f32_e32 v23, v21, v23
	ds_write2_b64 v3, v[9:10], v[14:15] offset1:14
	v_mul_i32_i24_e32 v3, 0xe0, v33
	v_fma_f32 v24, v24, 2.0, -v26
	v_fma_f32 v25, v25, 2.0, -v27
	v_fma_f32 v20, v20, 2.0, -v22
	v_fma_f32 v21, v21, 2.0, -v23
	v_add3_u32 v8, 0, v3, v2
	v_add_u32_e32 v1, 0x3800, v1
	ds_write2_b64 v8, v[24:25], v[26:27] offset1:14
	ds_write2_b64 v1, v[20:21], v[22:23] offset0:168 offset1:182
	v_and_b32_e32 v1, 1, v86
	v_lshlrev_b32_e32 v3, 4, v1
	s_waitcnt lgkmcnt(0)
	s_barrier
	global_load_dwordx4 v[4:7], v3, s[16:17]
	v_mul_u32_u24_e32 v3, 0x70, v86
	v_mul_i32_i24_e32 v14, 0x70, v32
	v_add3_u32 v3, 0, v3, v2
	s_movk_i32 s3, 0xff90
	v_mul_i32_i24_e32 v9, 0x70, v87
	v_mul_i32_i24_e32 v10, 0x70, v11
	v_add3_u32 v31, 0, v14, v2
	v_add_u32_e32 v14, 0x2a00, v3
	v_add_u32_e32 v18, 0x1e00, v3
	v_add_u32_e32 v22, 0x3600, v3
	v_add3_u32 v24, 0, v9, v2
	v_add3_u32 v39, 0, v10, v2
	v_mad_i32_i24 v10, v33, s3, v8
	ds_read_b64 v[8:9], v3
	ds_read2_b64 v[14:17], v14 offset0:28 offset1:224
	ds_read2_b64 v[18:21], v18 offset0:20 offset1:216
	;; [unrolled: 1-line block ×3, first 2 shown]
	ds_read_b64 v[22:23], v39
	ds_read_b64 v[29:30], v31
	;; [unrolled: 1-line block ×4, first 2 shown]
	ds_read_b64 v[37:38], v3 offset:17248
	s_waitcnt vmcnt(0) lgkmcnt(0)
	s_barrier
	s_movk_i32 s2, 0x70
	v_mul_f32_e32 v41, v5, v21
	v_mul_f32_e32 v42, v5, v20
	v_fma_f32 v41, v4, v20, -v41
	v_mul_f32_e32 v20, v7, v25
	v_mul_f32_e32 v45, v7, v26
	v_fmac_f32_e32 v20, v6, v26
	v_mul_f32_e32 v26, v7, v17
	v_mul_f32_e32 v10, v5, v19
	;; [unrolled: 1-line block ×4, first 2 shown]
	v_fma_f32 v26, v6, v16, -v26
	v_mul_f32_e32 v16, v7, v16
	v_mul_f32_e32 v44, v5, v33
	v_fma_f32 v10, v4, v18, -v10
	v_fmac_f32_e32 v40, v4, v19
	v_fma_f32 v18, v4, v33, -v43
	v_fma_f32 v19, v6, v25, -v45
	v_mul_f32_e32 v25, v7, v27
	v_fmac_f32_e32 v16, v6, v17
	v_mul_f32_e32 v17, v5, v15
	v_mul_f32_e32 v33, v5, v14
	v_fmac_f32_e32 v42, v4, v21
	v_fmac_f32_e32 v44, v4, v34
	v_mul_f32_e32 v21, v7, v28
	v_fmac_f32_e32 v25, v6, v28
	v_fma_f32 v28, v4, v14, -v17
	v_fmac_f32_e32 v33, v4, v15
	v_mul_f32_e32 v4, v38, v7
	v_add_f32_e32 v5, v18, v26
	v_fma_f32 v34, v37, v6, -v4
	v_mul_f32_e32 v37, v37, v7
	v_add_f32_e32 v4, v8, v18
	v_fma_f32 v8, -0.5, v5, v8
	v_fma_f32 v21, v6, v27, -v21
	v_fmac_f32_e32 v37, v38, v6
	v_sub_f32_e32 v5, v44, v16
	v_mov_b32_e32 v6, v8
	v_add_f32_e32 v7, v44, v16
	v_fmac_f32_e32 v6, 0x3f5db3d7, v5
	v_fmac_f32_e32 v8, 0xbf5db3d7, v5
	v_add_f32_e32 v5, v9, v44
	v_fmac_f32_e32 v9, -0.5, v7
	v_sub_f32_e32 v14, v18, v26
	v_mov_b32_e32 v7, v9
	v_add_f32_e32 v15, v10, v19
	v_fmac_f32_e32 v7, 0xbf5db3d7, v14
	v_fmac_f32_e32 v9, 0x3f5db3d7, v14
	v_add_f32_e32 v14, v35, v10
	v_fma_f32 v35, -0.5, v15, v35
	v_add_f32_e32 v5, v5, v16
	v_sub_f32_e32 v15, v40, v20
	v_mov_b32_e32 v16, v35
	v_add_f32_e32 v17, v40, v20
	v_fmac_f32_e32 v16, 0x3f5db3d7, v15
	v_fmac_f32_e32 v35, 0xbf5db3d7, v15
	v_add_f32_e32 v15, v36, v40
	v_fmac_f32_e32 v36, -0.5, v17
	v_sub_f32_e32 v10, v10, v19
	v_mov_b32_e32 v17, v36
	v_fmac_f32_e32 v17, 0xbf5db3d7, v10
	v_fmac_f32_e32 v36, 0x3f5db3d7, v10
	v_add_f32_e32 v10, v22, v41
	v_add_f32_e32 v18, v10, v21
	;; [unrolled: 1-line block ×3, first 2 shown]
	v_fma_f32 v22, -0.5, v10, v22
	v_add_f32_e32 v15, v15, v20
	v_sub_f32_e32 v10, v42, v25
	v_mov_b32_e32 v20, v22
	v_fmac_f32_e32 v20, 0x3f5db3d7, v10
	v_fmac_f32_e32 v22, 0xbf5db3d7, v10
	v_add_f32_e32 v10, v23, v42
	v_add_f32_e32 v14, v14, v19
	;; [unrolled: 1-line block ×4, first 2 shown]
	v_fmac_f32_e32 v23, -0.5, v10
	v_sub_f32_e32 v10, v41, v21
	v_mov_b32_e32 v21, v23
	v_fmac_f32_e32 v21, 0xbf5db3d7, v10
	v_fmac_f32_e32 v23, 0x3f5db3d7, v10
	v_add_f32_e32 v10, v29, v28
	v_add_f32_e32 v25, v10, v34
	;; [unrolled: 1-line block ×3, first 2 shown]
	v_fma_f32 v29, -0.5, v10, v29
	v_sub_f32_e32 v10, v33, v37
	v_mov_b32_e32 v27, v29
	v_fmac_f32_e32 v27, 0x3f5db3d7, v10
	v_fmac_f32_e32 v29, 0xbf5db3d7, v10
	v_add_f32_e32 v10, v30, v33
	v_add_f32_e32 v4, v4, v26
	;; [unrolled: 1-line block ×4, first 2 shown]
	v_fmac_f32_e32 v30, -0.5, v10
	v_sub_f32_e32 v10, v28, v34
	v_mov_b32_e32 v28, v30
	v_fmac_f32_e32 v28, 0xbf5db3d7, v10
	v_fmac_f32_e32 v30, 0x3f5db3d7, v10
	v_lshrrev_b32_e32 v10, 1, v86
	v_mul_u32_u24_e32 v10, 6, v10
	v_or_b32_e32 v10, v10, v1
	v_mul_u32_u24_e32 v10, 0x70, v10
	v_lshrrev_b32_e32 v33, 1, v87
	v_add3_u32 v10, 0, v10, v2
	v_mul_lo_u32 v33, v33, 6
	ds_write2_b64 v10, v[4:5], v[6:7] offset1:28
	ds_write_b64 v10, v[8:9] offset:448
	v_lshrrev_b32_e32 v5, 1, v11
	v_lshrrev_b32_e32 v6, 1, v32
	v_mul_lo_u32 v5, v5, 6
	v_mul_lo_u32 v6, v6, 6
	v_or_b32_e32 v33, v33, v1
	v_mul_lo_u32 v33, v33, s2
	v_or_b32_e32 v5, v5, v1
	v_or_b32_e32 v1, v6, v1
	v_mul_lo_u32 v5, v5, s2
	v_mul_lo_u32 v1, v1, s2
	v_add3_u32 v4, 0, v33, v2
	ds_write2_b64 v4, v[14:15], v[16:17] offset1:28
	ds_write_b64 v4, v[35:36] offset:448
	v_add3_u32 v4, 0, v5, v2
	v_add3_u32 v1, 0, v1, v2
	ds_write2_b64 v4, v[18:19], v[20:21] offset1:28
	ds_write_b64 v4, v[22:23] offset:448
	ds_write2_b64 v1, v[25:26], v[27:28] offset1:28
	ds_write_b64 v1, v[29:30] offset:448
	v_mul_lo_u16_e32 v25, 43, v86
	v_mov_b32_e32 v1, 6
	v_mul_lo_u16_sdwa v1, v25, v1 dst_sel:DWORD dst_unused:UNUSED_PAD src0_sel:BYTE_1 src1_sel:DWORD
	v_sub_u16_e32 v33, v86, v1
	v_mov_b32_e32 v34, 3
	v_mul_u32_u24_sdwa v1, v33, v34 dst_sel:DWORD dst_unused:UNUSED_PAD src0_sel:BYTE_0 src1_sel:DWORD
	v_lshlrev_b32_e32 v18, 3, v1
	s_waitcnt lgkmcnt(0)
	s_barrier
	global_load_dwordx4 v[4:7], v18, s[16:17] offset:32
	s_movk_i32 s2, 0xab
	v_mul_lo_u16_sdwa v1, v87, s2 dst_sel:DWORD dst_unused:UNUSED_PAD src0_sel:BYTE_0 src1_sel:DWORD
	v_lshrrev_b16_e32 v37, 10, v1
	v_mul_lo_u16_e32 v8, 6, v37
	v_sub_u16_e32 v38, v87, v8
	v_mul_u32_u24_sdwa v8, v38, v34 dst_sel:DWORD dst_unused:UNUSED_PAD src0_sel:BYTE_0 src1_sel:DWORD
	v_lshlrev_b32_e32 v19, 3, v8
	global_load_dwordx4 v[14:17], v19, s[16:17] offset:32
	v_mul_lo_u16_sdwa v8, v11, s2 dst_sel:DWORD dst_unused:UNUSED_PAD src0_sel:BYTE_0 src1_sel:DWORD
	v_lshrrev_b16_e32 v40, 10, v8
	v_mul_lo_u16_e32 v8, 6, v40
	v_sub_u16_e32 v41, v11, v8
	v_mul_u32_u24_sdwa v8, v41, v34 dst_sel:DWORD dst_unused:UNUSED_PAD src0_sel:BYTE_0 src1_sel:DWORD
	v_lshlrev_b32_e32 v20, 3, v8
	global_load_dwordx4 v[8:11], v20, s[16:17] offset:32
	global_load_dwordx2 v[22:23], v18, s[16:17] offset:48
	global_load_dwordx2 v[27:28], v19, s[16:17] offset:48
	;; [unrolled: 1-line block ×3, first 2 shown]
	ds_read_b64 v[31:32], v31
	ds_read_b64 v[35:36], v39
	v_add_u32_e32 v18, 0x2400, v3
	ds_read2_b64 v[18:21], v18 offset0:24 offset1:220
	v_add_u32_e32 v26, 0x1800, v3
	s_movk_i32 s2, 0x8c
	v_cmp_gt_u32_e64 s[2:3], s2, v0
	s_waitcnt vmcnt(5) lgkmcnt(2)
	v_mul_f32_e32 v39, v5, v32
	v_fma_f32 v39, v4, v31, -v39
	v_mul_f32_e32 v31, v5, v31
	v_fmac_f32_e32 v31, v4, v32
	s_waitcnt lgkmcnt(0)
	v_mul_f32_e32 v4, v7, v19
	v_fma_f32 v32, v6, v18, -v4
	v_mul_f32_e32 v18, v7, v18
	v_fmac_f32_e32 v18, v6, v19
	ds_read2_b64 v[4:7], v26 offset0:16 offset1:212
	s_waitcnt vmcnt(4)
	v_mul_f32_e32 v19, v17, v21
	v_fma_f32 v19, v16, v20, -v19
	v_mul_f32_e32 v20, v17, v20
	v_fmac_f32_e32 v20, v16, v21
	s_waitcnt lgkmcnt(0)
	v_mul_f32_e32 v16, v15, v5
	v_fma_f32 v21, v14, v4, -v16
	v_mul_f32_e32 v42, v15, v4
	v_add_u32_e32 v4, 0x3000, v3
	v_fmac_f32_e32 v42, v14, v5
	ds_read2_b64 v[14:17], v4 offset0:32 offset1:228
	s_waitcnt vmcnt(3)
	v_mul_f32_e32 v4, v7, v9
	v_fma_f32 v43, v6, v8, -v4
	v_mul_f32_e32 v44, v6, v9
	v_fmac_f32_e32 v44, v7, v8
	s_waitcnt lgkmcnt(0)
	v_mul_f32_e32 v4, v15, v11
	v_fma_f32 v45, v14, v10, -v4
	v_add_u32_e32 v4, 0x3c00, v3
	ds_read2_b64 v[4:7], v4 offset0:40 offset1:236
	v_mul_f32_e32 v46, v14, v11
	v_fmac_f32_e32 v46, v15, v10
	s_waitcnt vmcnt(2)
	v_mul_f32_e32 v9, v23, v16
	v_mul_f32_e32 v8, v23, v17
	s_waitcnt vmcnt(1) lgkmcnt(0)
	v_mul_f32_e32 v10, v5, v28
	v_mul_f32_e32 v15, v4, v28
	v_fma_f32 v14, v4, v27, -v10
	v_fmac_f32_e32 v15, v5, v27
	ds_read_b64 v[4:5], v3
	v_fmac_f32_e32 v9, v22, v17
	s_waitcnt vmcnt(0)
	v_mul_f32_e32 v10, v7, v30
	v_mul_f32_e32 v17, v6, v30
	v_fma_f32 v8, v22, v16, -v8
	v_fma_f32 v16, v6, v29, -v10
	v_fmac_f32_e32 v17, v7, v29
	ds_read_b64 v[6:7], v24
	s_waitcnt lgkmcnt(1)
	v_sub_f32_e32 v18, v5, v18
	v_sub_f32_e32 v27, v31, v9
	v_fma_f32 v11, v5, 2.0, -v18
	v_fma_f32 v5, v31, 2.0, -v27
	v_sub_f32_e32 v22, v4, v32
	v_sub_f32_e32 v23, v39, v8
	v_sub_f32_e32 v5, v11, v5
	v_fma_f32 v10, v4, 2.0, -v22
	v_fma_f32 v4, v39, 2.0, -v23
	;; [unrolled: 1-line block ×3, first 2 shown]
	v_add_f32_e32 v11, v18, v23
	v_sub_f32_e32 v4, v10, v4
	v_fma_f32 v28, v18, 2.0, -v11
	s_waitcnt lgkmcnt(0)
	v_sub_f32_e32 v18, v6, v19
	v_sub_f32_e32 v19, v7, v20
	;; [unrolled: 1-line block ×3, first 2 shown]
	v_fma_f32 v8, v10, 2.0, -v4
	v_sub_f32_e32 v10, v22, v27
	v_fma_f32 v20, v6, 2.0, -v18
	v_sub_f32_e32 v14, v42, v15
	v_fma_f32 v6, v21, 2.0, -v23
	v_add_f32_e32 v15, v19, v23
	v_sub_f32_e32 v21, v36, v46
	v_fma_f32 v27, v22, 2.0, -v10
	v_fma_f32 v22, v7, 2.0, -v19
	v_sub_f32_e32 v6, v20, v6
	v_fma_f32 v32, v19, 2.0, -v15
	v_fma_f32 v19, v36, 2.0, -v21
	;; [unrolled: 3-line block ×3, first 2 shown]
	v_sub_f32_e32 v14, v18, v14
	v_sub_f32_e32 v20, v35, v45
	v_fma_f32 v17, v44, 2.0, -v36
	v_fma_f32 v31, v18, 2.0, -v14
	;; [unrolled: 1-line block ×3, first 2 shown]
	v_sub_f32_e32 v35, v43, v16
	v_sub_f32_e32 v17, v19, v17
	v_fma_f32 v16, v43, 2.0, -v35
	v_fma_f32 v23, v19, 2.0, -v17
	v_add_f32_e32 v19, v21, v35
	v_mov_b32_e32 v35, 24
	v_mul_u32_u24_sdwa v25, v25, v35 dst_sel:DWORD dst_unused:UNUSED_PAD src0_sel:BYTE_1 src1_sel:DWORD
	v_or_b32_sdwa v25, v25, v33 dst_sel:DWORD dst_unused:UNUSED_PAD src0_sel:DWORD src1_sel:BYTE_0
	v_mul_u32_u24_e32 v25, 0x70, v25
	v_add3_u32 v25, 0, v25, v2
	s_barrier
	ds_write2_b64 v25, v[8:9], v[27:28] offset1:84
	ds_write2_b64 v25, v[4:5], v[10:11] offset0:168 offset1:252
	v_mul_u32_u24_e32 v4, 24, v37
	v_or_b32_sdwa v4, v4, v38 dst_sel:DWORD dst_unused:UNUSED_PAD src0_sel:DWORD src1_sel:BYTE_0
	v_sub_f32_e32 v7, v22, v7
	v_mul_u32_u24_e32 v4, 0x70, v4
	v_fma_f32 v30, v22, 2.0, -v7
	v_add3_u32 v4, 0, v4, v2
	ds_write2_b64 v4, v[29:30], v[31:32] offset1:84
	ds_write2_b64 v4, v[6:7], v[14:15] offset0:168 offset1:252
	v_mul_u32_u24_e32 v4, 24, v40
	v_sub_f32_e32 v16, v18, v16
	v_or_b32_sdwa v4, v4, v41 dst_sel:DWORD dst_unused:UNUSED_PAD src0_sel:DWORD src1_sel:BYTE_0
	v_fma_f32 v22, v18, 2.0, -v16
	v_sub_f32_e32 v18, v20, v36
	v_mul_u32_u24_e32 v4, 0x70, v4
	v_fma_f32 v20, v20, 2.0, -v18
	v_fma_f32 v21, v21, 2.0, -v19
	v_add3_u32 v2, 0, v4, v2
	ds_write2_b64 v2, v[22:23], v[20:21] offset1:84
	ds_write2_b64 v2, v[16:17], v[18:19] offset0:168 offset1:252
	s_waitcnt lgkmcnt(0)
	s_barrier
	ds_read_b64 v[4:5], v3
	ds_read_b64 v[32:33], v3 offset:2688
	ds_read_b64 v[30:31], v3 offset:5376
	;; [unrolled: 1-line block ×6, first 2 shown]
                                        ; implicit-def: $vgpr25
                                        ; implicit-def: $vgpr27
	s_and_saveexec_b64 s[18:19], s[2:3]
	s_cbranch_execz .LBB0_16
; %bb.15:
	ds_read2_b32 v[20:21], v26 offset0:200 offset1:201
	ds_read_b64 v[22:23], v3 offset:4256
	ds_read_b64 v[16:17], v3 offset:9632
	;; [unrolled: 1-line block ×4, first 2 shown]
	ds_read_b64 v[14:15], v24
	ds_read_b64 v[24:25], v3 offset:17696
.LBB0_16:
	s_or_b64 exec, exec, s[18:19]
	v_mul_lo_u16_e32 v0, 11, v86
	v_mul_lo_u16_sdwa v0, v0, v35 dst_sel:DWORD dst_unused:UNUSED_PAD src0_sel:BYTE_1 src1_sel:DWORD
	v_sub_u16_e32 v0, v86, v0
	v_and_b32_e32 v89, 0xff, v0
	v_mul_u32_u24_e32 v0, 6, v89
	v_lshlrev_b32_e32 v0, 3, v0
	global_load_dwordx4 v[35:38], v0, s[16:17] offset:176
	global_load_dwordx4 v[39:42], v0, s[16:17] offset:192
	;; [unrolled: 1-line block ×3, first 2 shown]
	s_load_dwordx2 s[4:5], s[4:5], 0x8
	v_mul_lo_u32 v0, v12, v89
	v_add_u32_e32 v91, 24, v89
	v_add_u32_e32 v90, 48, v89
	;; [unrolled: 1-line block ×3, first 2 shown]
	v_or_b32_e32 v2, 0x60, v89
	v_add_u32_e32 v93, 0x78, v89
	v_mul_lo_u32 v3, v12, v91
	v_mul_lo_u32 v73, v12, v90
	;; [unrolled: 1-line block ×5, first 2 shown]
	v_lshlrev_b32_sdwa v51, v34, v0 dst_sel:DWORD dst_unused:UNUSED_PAD src0_sel:DWORD src1_sel:BYTE_0
	v_lshlrev_b32_sdwa v52, v34, v0 dst_sel:DWORD dst_unused:UNUSED_PAD src0_sel:DWORD src1_sel:BYTE_1
	s_waitcnt lgkmcnt(0)
	global_load_dwordx2 v[47:48], v51, s[4:5]
	global_load_dwordx2 v[49:50], v52, s[4:5] offset:2048
	v_lshlrev_b32_sdwa v55, v34, v3 dst_sel:DWORD dst_unused:UNUSED_PAD src0_sel:DWORD src1_sel:BYTE_0
	v_lshlrev_b32_sdwa v56, v34, v3 dst_sel:DWORD dst_unused:UNUSED_PAD src0_sel:DWORD src1_sel:BYTE_1
	v_lshlrev_b32_sdwa v59, v34, v73 dst_sel:DWORD dst_unused:UNUSED_PAD src0_sel:DWORD src1_sel:BYTE_0
	v_lshlrev_b32_sdwa v60, v34, v73 dst_sel:DWORD dst_unused:UNUSED_PAD src0_sel:DWORD src1_sel:BYTE_1
	;; [unrolled: 2-line block ×4, first 2 shown]
	v_mov_b32_e32 v82, 0x1000
	v_lshlrev_b32_sdwa v71, v34, v81 dst_sel:DWORD dst_unused:UNUSED_PAD src0_sel:DWORD src1_sel:BYTE_0
	v_bfe_u32 v0, v0, 16, 8
	global_load_dwordx2 v[51:52], v55, s[4:5]
	global_load_dwordx2 v[53:54], v56, s[4:5] offset:2048
	s_nop 0
	global_load_dwordx2 v[55:56], v59, s[4:5]
	global_load_dwordx2 v[57:58], v60, s[4:5] offset:2048
	s_nop 0
	global_load_dwordx2 v[59:60], v63, s[4:5]
	global_load_dwordx2 v[61:62], v64, s[4:5] offset:2048
	s_nop 0
	global_load_dwordx2 v[63:64], v67, s[4:5]
	global_load_dwordx2 v[65:66], v68, s[4:5] offset:2048
	v_lshlrev_b32_sdwa v72, v34, v81 dst_sel:DWORD dst_unused:UNUSED_PAD src0_sel:DWORD src1_sel:BYTE_1
	global_load_dwordx2 v[67:68], v71, s[4:5]
	global_load_dwordx2 v[69:70], v72, s[4:5] offset:2048
	v_lshl_or_b32 v0, v0, 3, v82
	v_bfe_u32 v3, v3, 16, 8
	global_load_dwordx2 v[71:72], v0, s[4:5]
	v_bfe_u32 v0, v74, 16, 8
	v_lshl_or_b32 v3, v3, 3, v82
	v_bfe_u32 v75, v73, 16, 8
	global_load_dwordx2 v[73:74], v3, s[4:5]
	v_lshl_or_b32 v0, v0, 3, v82
	v_lshl_or_b32 v3, v75, 3, v82
	global_load_dwordx2 v[75:76], v0, s[4:5]
	global_load_dwordx2 v[77:78], v3, s[4:5]
	v_lshrrev_b16_e32 v0, 12, v1
	v_bfe_u32 v1, v2, 16, 8
	v_lshl_or_b32 v1, v1, 3, v82
	global_load_dwordx2 v[79:80], v1, s[4:5]
	v_mul_lo_u16_e32 v0, 24, v0
	v_sub_u16_e32 v0, v87, v0
	v_and_b32_e32 v83, 0xff, v0
	v_mul_u32_u24_e32 v0, 6, v83
	v_lshlrev_b32_e32 v84, 3, v0
	global_load_dwordx4 v[0:3], v84, s[16:17] offset:176
	s_mov_b32 s18, 0x3f5ff5aa
	s_mov_b32 s19, 0xbf3bfb3b
	s_andn2_b64 vcc, exec, s[0:1]
	s_waitcnt vmcnt(20)
	v_mul_f32_e32 v94, v38, v31
	s_waitcnt vmcnt(19)
	v_mul_f32_e32 v96, v42, v11
	v_mul_f32_e32 v42, v42, v10
	s_waitcnt vmcnt(18)
	v_mul_f32_e32 v97, v44, v9
	v_mul_f32_e32 v44, v44, v8
	;; [unrolled: 1-line block ×3, first 2 shown]
	v_fma_f32 v30, v37, v30, -v94
	v_fmac_f32_e32 v42, v41, v11
	v_fmac_f32_e32 v44, v43, v9
	v_mul_f32_e32 v9, v46, v7
	v_mul_f32_e32 v11, v46, v6
	v_add_u32_e32 v94, 0x90, v89
	v_fma_f32 v6, v45, v6, -v9
	v_fmac_f32_e32 v11, v45, v7
	v_mul_lo_u32 v45, v12, v94
	v_bfe_u32 v46, v81, 16, 8
	v_mul_f32_e32 v95, v40, v29
	s_waitcnt vmcnt(16)
	v_mul_f32_e32 v7, v48, v50
	v_mul_f32_e32 v9, v47, v50
	v_lshl_or_b32 v46, v46, 3, v82
	v_mul_f32_e32 v40, v40, v28
	v_fma_f32 v28, v39, v28, -v95
	v_fma_f32 v10, v41, v10, -v96
	v_fma_f32 v8, v43, v8, -v97
	v_fma_f32 v7, v47, v49, -v7
	v_fmac_f32_e32 v9, v48, v49
	v_lshlrev_b32_sdwa v47, v34, v45 dst_sel:DWORD dst_unused:UNUSED_PAD src0_sel:DWORD src1_sel:BYTE_0
	v_lshlrev_b32_sdwa v50, v34, v45 dst_sel:DWORD dst_unused:UNUSED_PAD src0_sel:DWORD src1_sel:BYTE_1
	global_load_dwordx2 v[48:49], v46, s[4:5]
	global_load_dwordx2 v[95:96], v47, s[4:5]
	global_load_dwordx2 v[97:98], v50, s[4:5] offset:2048
	v_mul_f32_e32 v85, v36, v33
	v_mul_f32_e32 v36, v36, v32
	v_fmac_f32_e32 v38, v37, v31
	s_waitcnt vmcnt(17)
	v_mul_f32_e32 v31, v51, v54
	v_fma_f32 v32, v35, v32, -v85
	s_waitcnt vmcnt(9)
	v_mul_f32_e32 v46, v68, v70
	v_fma_f32 v99, v67, v69, -v46
	v_fmac_f32_e32 v36, v35, v33
	s_waitcnt vmcnt(8)
	v_mul_f32_e32 v46, v9, v72
	v_fmac_f32_e32 v40, v39, v29
	v_mul_f32_e32 v29, v52, v54
	v_fmac_f32_e32 v31, v52, v53
	v_mul_f32_e32 v35, v55, v58
	v_fma_f32 v46, v71, v7, -v46
	v_mul_f32_e32 v7, v7, v72
	v_fma_f32 v29, v51, v53, -v29
	v_mul_f32_e32 v33, v56, v58
	v_fmac_f32_e32 v35, v56, v57
	v_mul_f32_e32 v39, v59, v62
	v_fmac_f32_e32 v7, v71, v9
	s_waitcnt vmcnt(7)
	v_mul_f32_e32 v9, v31, v74
	v_fma_f32 v33, v55, v57, -v33
	v_mul_f32_e32 v37, v60, v62
	v_fmac_f32_e32 v39, v60, v61
	v_mul_f32_e32 v43, v63, v66
	v_fma_f32 v81, v73, v29, -v9
	s_waitcnt vmcnt(5)
	v_mul_f32_e32 v9, v35, v78
	v_fma_f32 v37, v59, v61, -v37
	v_mul_f32_e32 v41, v64, v66
	v_fmac_f32_e32 v43, v64, v65
	v_fma_f32 v101, v77, v33, -v9
	v_mul_f32_e32 v102, v33, v78
	v_mul_f32_e32 v9, v39, v76
	v_fma_f32 v41, v63, v65, -v41
	v_mul_f32_e32 v74, v29, v74
	v_fmac_f32_e32 v102, v77, v35
	v_fma_f32 v77, v75, v37, -v9
	s_waitcnt vmcnt(4)
	v_mul_f32_e32 v9, v43, v80
	v_fmac_f32_e32 v74, v73, v31
	v_fma_f32 v103, v79, v41, -v9
	v_add_f32_e32 v9, v32, v6
	v_add_f32_e32 v31, v30, v8
	;; [unrolled: 1-line block ×3, first 2 shown]
	v_sub_f32_e32 v11, v36, v11
	v_sub_f32_e32 v8, v30, v8
	v_add_f32_e32 v30, v38, v44
	v_add_f32_e32 v33, v28, v10
	;; [unrolled: 1-line block ×3, first 2 shown]
	v_sub_f32_e32 v10, v10, v28
	v_add_f32_e32 v28, v40, v42
	v_sub_f32_e32 v104, v31, v9
	v_sub_f32_e32 v9, v9, v33
	;; [unrolled: 1-line block ×3, first 2 shown]
	v_add_f32_e32 v31, v33, v36
	v_add_f32_e32 v33, v30, v29
	v_mul_f32_e32 v76, v37, v76
	v_sub_f32_e32 v6, v32, v6
	v_sub_f32_e32 v32, v38, v44
	;; [unrolled: 1-line block ×6, first 2 shown]
	v_add_f32_e32 v28, v28, v33
	v_add_f32_e32 v30, v10, v8
	;; [unrolled: 1-line block ×3, first 2 shown]
	v_fmac_f32_e32 v76, v75, v39
	v_mul_f32_e32 v75, v41, v80
	v_sub_f32_e32 v80, v6, v10
	v_sub_f32_e32 v108, v8, v6
	v_add_f32_e32 v109, v30, v6
	v_add_f32_e32 v6, v35, v32
	;; [unrolled: 1-line block ×3, first 2 shown]
	v_mul_f32_e32 v73, v4, v7
	v_add_f32_e32 v112, v6, v11
	v_mul_f32_e32 v6, v5, v7
	v_fmac_f32_e32 v73, v5, v46
	v_mov_b32_e32 v114, v5
	v_mul_lo_u32 v5, v12, v83
	v_fma_f32 v72, v4, v46, -v6
	v_mov_b32_e32 v113, v4
	v_bfe_u32 v4, v45, 16, 8
	v_lshlrev_b32_sdwa v6, v34, v5 dst_sel:DWORD dst_unused:UNUSED_PAD src0_sel:DWORD src1_sel:BYTE_0
	v_lshlrev_b32_sdwa v7, v34, v5 dst_sel:DWORD dst_unused:UNUSED_PAD src0_sel:DWORD src1_sel:BYTE_1
	v_bfe_u32 v5, v5, 16, 8
	v_sub_f32_e32 v33, v10, v8
	v_sub_f32_e32 v8, v35, v32
	v_lshl_or_b32 v4, v4, 3, v82
	v_lshl_or_b32 v5, v5, 3, v82
	v_fmac_f32_e32 v75, v79, v43
	v_sub_f32_e32 v110, v11, v35
	v_sub_f32_e32 v111, v32, v11
	v_fmac_f32_e32 v113, 0xbf955555, v31
	v_fmac_f32_e32 v114, 0xbf955555, v28
	v_mul_f32_e32 v115, 0x3f4a47b2, v29
	v_mul_f32_e32 v116, 0xbf08b237, v33
	;; [unrolled: 1-line block ×3, first 2 shown]
	v_add_u32_e32 v8, 24, v83
	global_load_dwordx2 v[78:79], v4, s[4:5]
	global_load_dwordx2 v[30:31], v6, s[4:5]
	global_load_dwordx2 v[32:33], v7, s[4:5] offset:2048
	global_load_dwordx2 v[28:29], v5, s[4:5]
	v_add_u32_e32 v5, 48, v83
	v_add_u32_e32 v10, 0x48, v83
	v_or_b32_e32 v11, 0x60, v83
	v_mul_lo_u32 v8, v12, v8
	v_mul_lo_u32 v5, v12, v5
	v_mul_lo_u32 v10, v12, v10
	v_mul_lo_u32 v11, v12, v11
	v_add_u32_e32 v36, 0x78, v83
	v_add_u32_e32 v37, 0x90, v83
	v_mul_lo_u32 v36, v12, v36
	v_mul_lo_u32 v37, v12, v37
	v_mul_f32_e32 v85, 0x3f4a47b2, v9
	v_lshlrev_b32_sdwa v4, v34, v8 dst_sel:DWORD dst_unused:UNUSED_PAD src0_sel:DWORD src1_sel:BYTE_0
	v_lshlrev_b32_sdwa v6, v34, v8 dst_sel:DWORD dst_unused:UNUSED_PAD src0_sel:DWORD src1_sel:BYTE_1
	v_bfe_u32 v7, v8, 16, 8
	v_lshlrev_b32_sdwa v8, v34, v5 dst_sel:DWORD dst_unused:UNUSED_PAD src0_sel:DWORD src1_sel:BYTE_0
	v_lshlrev_b32_sdwa v9, v34, v5 dst_sel:DWORD dst_unused:UNUSED_PAD src0_sel:DWORD src1_sel:BYTE_1
	v_bfe_u32 v5, v5, 16, 8
	;; [unrolled: 3-line block ×4, first 2 shown]
	v_mul_f32_e32 v100, v67, v70
	v_lshl_or_b32 v7, v7, 3, v82
	v_lshl_or_b32 v5, v5, 3, v82
	;; [unrolled: 1-line block ×4, first 2 shown]
	v_lshlrev_b32_sdwa v45, v34, v36 dst_sel:DWORD dst_unused:UNUSED_PAD src0_sel:DWORD src1_sel:BYTE_0
	v_lshlrev_b32_sdwa v83, v34, v36 dst_sel:DWORD dst_unused:UNUSED_PAD src0_sel:DWORD src1_sel:BYTE_1
	v_bfe_u32 v36, v36, 16, 8
	v_lshlrev_b32_sdwa v120, v34, v37 dst_sel:DWORD dst_unused:UNUSED_PAD src0_sel:DWORD src1_sel:BYTE_0
	v_lshlrev_b32_sdwa v121, v34, v37 dst_sel:DWORD dst_unused:UNUSED_PAD src0_sel:DWORD src1_sel:BYTE_1
	v_bfe_u32 v34, v37, 16, 8
	v_fmac_f32_e32 v100, v68, v69
	v_lshl_or_b32 v119, v36, 3, v82
	v_lshl_or_b32 v82, v34, 3, v82
	global_load_dwordx2 v[68:69], v4, s[4:5]
	global_load_dwordx2 v[70:71], v6, s[4:5] offset:2048
	global_load_dwordx2 v[66:67], v7, s[4:5]
	global_load_dwordx2 v[62:63], v8, s[4:5]
	global_load_dwordx2 v[64:65], v9, s[4:5] offset:2048
	global_load_dwordx2 v[60:61], v5, s[4:5]
	;; [unrolled: 3-line block ×5, first 2 shown]
                                        ; kill: killed $vgpr45
                                        ; kill: killed $vgpr44
                                        ; kill: killed $vgpr10
                                        ; kill: killed $vgpr43
                                        ; kill: killed $vgpr42
                                        ; kill: killed $vgpr5
                                        ; kill: killed $vgpr35
                                        ; kill: killed $vgpr9
                                        ; kill: killed $vgpr7
                                        ; kill: killed $vgpr8
                                        ; kill: killed $vgpr6
                                        ; kill: killed $vgpr119
                                        ; kill: killed $vgpr4
                                        ; kill: killed $vgpr83
                                        ; kill: killed $vgpr11
	global_load_dwordx2 v[42:43], v120, s[4:5]
	s_nop 0
	global_load_dwordx2 v[44:45], v121, s[4:5] offset:2048
	global_load_dwordx2 v[34:35], v82, s[4:5]
	global_load_dwordx4 v[4:7], v84, s[16:17] offset:208
	global_load_dwordx4 v[8:11], v84, s[16:17] offset:192
	v_fma_f32 v118, v104, s19, -v85
	v_fmac_f32_e32 v85, 0x3d64c772, v105
	v_fma_f32 v82, v106, s19, -v115
	v_fmac_f32_e32 v115, 0x3d64c772, v107
	;; [unrolled: 2-line block ×4, first 2 shown]
	v_add_f32_e32 v121, v85, v113
	v_add_f32_e32 v115, v115, v114
	v_fmac_f32_e32 v116, 0x3ee1c552, v109
	v_fmac_f32_e32 v117, 0x3ee1c552, v112
	v_add_f32_e32 v83, v117, v121
	v_sub_f32_e32 v122, v115, v116
	v_mul_f32_e32 v84, v122, v74
	v_mul_f32_e32 v85, v83, v74
	;; [unrolled: 1-line block ×3, first 2 shown]
	s_mov_b32 s4, 0xbeae86e6
	v_fma_f32 v108, v80, s4, -v74
	v_mul_f32_e32 v74, 0x3f5ff5aa, v111
	v_fma_f32 v110, v110, s4, -v74
	v_add_f32_e32 v111, v118, v113
	v_fmac_f32_e32 v110, 0x3ee1c552, v112
	v_add_f32_e32 v118, v82, v114
	v_fmac_f32_e32 v108, 0x3ee1c552, v109
	v_add_f32_e32 v74, v110, v111
	v_fma_f32 v84, v83, v81, -v84
	v_fmac_f32_e32 v85, v122, v81
	v_sub_f32_e32 v82, v118, v108
	v_mul_f32_e32 v81, v74, v102
	v_mul_f32_e32 v80, v82, v102
	v_fmac_f32_e32 v81, v82, v101
	s_mov_b32 s4, 0x3f3bfb3b
	v_mul_f32_e32 v82, 0x3d64c772, v107
	v_fma_f32 v80, v74, v101, -v80
	v_mul_f32_e32 v74, 0x3d64c772, v105
	v_fma_f32 v82, v106, s4, -v82
	v_fma_f32 v74, v104, s4, -v74
	v_add_f32_e32 v101, v82, v114
	v_fmac_f32_e32 v119, 0x3ee1c552, v109
	v_add_f32_e32 v74, v74, v113
	v_fmac_f32_e32 v120, 0x3ee1c552, v112
	v_add_f32_e32 v102, v119, v101
	v_sub_f32_e32 v83, v74, v120
	v_mul_f32_e32 v82, v102, v76
	v_fma_f32 v82, v83, v77, -v82
	v_mul_f32_e32 v83, v83, v76
	v_fmac_f32_e32 v83, v102, v77
	v_sub_f32_e32 v77, v101, v119
	v_add_f32_e32 v76, v120, v74
	v_mul_f32_e32 v74, v77, v75
	v_fma_f32 v74, v76, v103, -v74
	v_mul_f32_e32 v75, v76, v75
	s_waitcnt vmcnt(26)
	v_mul_f32_e32 v76, v100, v49
	v_mul_f32_e32 v49, v99, v49
	v_sub_f32_e32 v101, v111, v110
	v_add_f32_e32 v102, v108, v118
	v_fmac_f32_e32 v49, v48, v100
	v_fmac_f32_e32 v75, v77, v103
	v_fma_f32 v103, v48, v99, -v76
	v_mul_f32_e32 v48, v102, v49
	v_mul_f32_e32 v77, v101, v49
	s_waitcnt vmcnt(24)
	v_mul_f32_e32 v49, v95, v98
	v_fma_f32 v76, v101, v103, -v48
	v_mul_f32_e32 v48, v96, v98
	v_fmac_f32_e32 v49, v96, v97
	v_fma_f32 v48, v95, v97, -v48
	s_waitcnt vmcnt(23)
	v_mul_f32_e32 v95, v49, v79
	v_fma_f32 v95, v78, v48, -v95
	v_mul_f32_e32 v48, v48, v79
	v_sub_f32_e32 v104, v121, v117
	v_add_f32_e32 v105, v116, v115
	v_fmac_f32_e32 v48, v78, v49
	v_mul_f32_e32 v49, v105, v48
	v_mul_f32_e32 v79, v104, v48
	v_fmac_f32_e32 v77, v102, v103
	v_fma_f32 v78, v104, v95, -v49
	v_fmac_f32_e32 v79, v105, v95
	s_cbranch_vccnz .LBB0_18
; %bb.17:
	v_mad_u64_u32 v[48:49], s[0:1], s12, v88, 0
	v_mad_u64_u32 v[95:96], s[0:1], s8, v89, 0
	s_waitcnt vmcnt(10)
	v_mad_u64_u32 v[97:98], s[0:1], s13, v88, v[49:50]
	v_mov_b32_e32 v49, v96
	v_mad_u64_u32 v[98:99], s[0:1], s9, v89, v[49:50]
	v_mov_b32_e32 v49, v97
	s_lshl_b64 s[0:1], s[6:7], 3
	s_add_u32 s0, s14, s0
	v_lshlrev_b64 v[48:49], 3, v[48:49]
	s_addc_u32 s1, s15, s1
	v_mov_b32_e32 v97, s1
	v_add_co_u32_e32 v48, vcc, s0, v48
	v_mov_b32_e32 v96, v98
	v_addc_co_u32_e32 v49, vcc, v97, v49, vcc
	v_mad_u64_u32 v[97:98], s[0:1], s8, v91, 0
	v_lshlrev_b64 v[95:96], 3, v[95:96]
	v_add_u32_e32 v101, 0x60, v89
	v_mad_u64_u32 v[98:99], s[0:1], s9, v91, v[98:99]
	v_mad_u64_u32 v[99:100], s[0:1], s8, v90, 0
	v_add_co_u32_e32 v95, vcc, v48, v95
	v_addc_co_u32_e32 v96, vcc, v49, v96, vcc
	global_store_dwordx2 v[95:96], v[72:73], off
	v_lshlrev_b64 v[95:96], 3, v[97:98]
	v_mov_b32_e32 v97, v100
	v_mad_u64_u32 v[97:98], s[0:1], s9, v90, v[97:98]
	v_add_co_u32_e32 v95, vcc, v48, v95
	v_mov_b32_e32 v100, v97
	v_mad_u64_u32 v[97:98], s[0:1], s8, v92, 0
	v_addc_co_u32_e32 v96, vcc, v49, v96, vcc
	global_store_dwordx2 v[95:96], v[84:85], off
	v_lshlrev_b64 v[95:96], 3, v[99:100]
	v_mad_u64_u32 v[98:99], s[0:1], s9, v92, v[98:99]
	v_mad_u64_u32 v[99:100], s[0:1], s8, v101, 0
	v_add_co_u32_e32 v95, vcc, v48, v95
	v_addc_co_u32_e32 v96, vcc, v49, v96, vcc
	v_mov_b32_e32 v92, v100
	global_store_dwordx2 v[95:96], v[80:81], off
	v_lshlrev_b64 v[95:96], 3, v[97:98]
	v_mad_u64_u32 v[97:98], s[0:1], s9, v101, v[92:93]
	v_add_co_u32_e32 v95, vcc, v48, v95
	v_mov_b32_e32 v100, v97
	v_mad_u64_u32 v[97:98], s[0:1], s8, v93, 0
	v_addc_co_u32_e32 v96, vcc, v49, v96, vcc
	global_store_dwordx2 v[95:96], v[82:83], off
	v_lshlrev_b64 v[95:96], 3, v[99:100]
	v_mov_b32_e32 v92, v98
	v_mad_u64_u32 v[99:100], s[0:1], s8, v94, 0
	v_mad_u64_u32 v[92:93], s[0:1], s9, v93, v[92:93]
	v_add_co_u32_e32 v95, vcc, v48, v95
	v_addc_co_u32_e32 v96, vcc, v49, v96, vcc
	global_store_dwordx2 v[95:96], v[74:75], off
	v_mov_b32_e32 v95, v100
	v_mov_b32_e32 v98, v92
	v_mad_u64_u32 v[94:95], s[0:1], s9, v94, v[95:96]
	v_lshlrev_b64 v[92:93], 3, v[97:98]
	v_add_co_u32_e32 v92, vcc, v48, v92
	v_addc_co_u32_e32 v93, vcc, v49, v93, vcc
	v_mov_b32_e32 v100, v94
	global_store_dwordx2 v[92:93], v[76:77], off
	v_lshlrev_b64 v[92:93], 3, v[99:100]
	s_and_b64 s[0:1], s[2:3], exec
	v_add_co_u32_e32 v92, vcc, v48, v92
	v_addc_co_u32_e32 v93, vcc, v49, v93, vcc
	global_store_dwordx2 v[92:93], v[78:79], off
	s_cbranch_execz .LBB0_19
	s_branch .LBB0_22
.LBB0_18:
	s_mov_b64 s[0:1], 0
                                        ; implicit-def: $vgpr48_vgpr49
.LBB0_19:
	v_cmp_gt_u64_e32 vcc, s[10:11], v[12:13]
                                        ; implicit-def: $vgpr48_vgpr49
	s_and_saveexec_b64 s[4:5], vcc
	s_cbranch_execz .LBB0_21
; %bb.20:
	v_mad_u64_u32 v[12:13], s[10:11], s12, v88, 0
	v_mad_u64_u32 v[92:93], s[10:11], s8, v89, 0
	;; [unrolled: 1-line block ×3, first 2 shown]
	v_mov_b32_e32 v13, v93
	v_mad_u64_u32 v[93:94], s[10:11], s9, v89, v[13:14]
	v_mov_b32_e32 v13, v48
	s_lshl_b64 s[6:7], s[6:7], 3
	s_add_u32 s6, s14, s6
	v_lshlrev_b64 v[12:13], 3, v[12:13]
	s_addc_u32 s7, s15, s7
	v_mov_b32_e32 v49, s7
	v_add_co_u32_e32 v48, vcc, s6, v12
	v_addc_co_u32_e32 v49, vcc, v49, v13, vcc
	v_lshlrev_b64 v[12:13], 3, v[92:93]
	v_mad_u64_u32 v[92:93], s[6:7], s8, v91, 0
	v_add_co_u32_e32 v12, vcc, v48, v12
	v_mov_b32_e32 v88, v93
	v_mad_u64_u32 v[93:94], s[6:7], s9, v91, v[88:89]
	v_mad_u64_u32 v[94:95], s[6:7], s8, v90, 0
	v_addc_co_u32_e32 v13, vcc, v49, v13, vcc
	global_store_dwordx2 v[12:13], v[72:73], off
	v_lshlrev_b64 v[12:13], 3, v[92:93]
	v_mov_b32_e32 v72, v95
	v_mad_u64_u32 v[72:73], s[6:7], s9, v90, v[72:73]
	v_add_co_u32_e32 v12, vcc, v48, v12
	v_addc_co_u32_e32 v13, vcc, v49, v13, vcc
	global_store_dwordx2 v[12:13], v[84:85], off
	v_add_u32_e32 v84, 0x48, v89
	v_mov_b32_e32 v95, v72
	v_mad_u64_u32 v[72:73], s[6:7], s8, v84, 0
	v_lshlrev_b64 v[12:13], 3, v[94:95]
	s_andn2_b64 s[0:1], s[0:1], exec
	v_mad_u64_u32 v[84:85], s[6:7], s9, v84, v[73:74]
	v_add_u32_e32 v85, 0x60, v89
	v_mad_u64_u32 v[90:91], s[6:7], s8, v85, 0
	v_add_co_u32_e32 v12, vcc, v48, v12
	v_addc_co_u32_e32 v13, vcc, v49, v13, vcc
	v_mov_b32_e32 v73, v84
	global_store_dwordx2 v[12:13], v[80:81], off
	v_lshlrev_b64 v[12:13], 3, v[72:73]
	v_mov_b32_e32 v72, v91
	v_mad_u64_u32 v[72:73], s[6:7], s9, v85, v[72:73]
	v_add_u32_e32 v80, 0x78, v89
	v_add_co_u32_e32 v12, vcc, v48, v12
	v_mov_b32_e32 v91, v72
	v_mad_u64_u32 v[72:73], s[6:7], s8, v80, 0
	v_addc_co_u32_e32 v13, vcc, v49, v13, vcc
	global_store_dwordx2 v[12:13], v[82:83], off
	v_mad_u64_u32 v[80:81], s[6:7], s9, v80, v[73:74]
	v_add_u32_e32 v83, 0x90, v89
	v_lshlrev_b64 v[12:13], 3, v[90:91]
	v_mad_u64_u32 v[81:82], s[6:7], s8, v83, 0
	v_add_co_u32_e32 v12, vcc, v48, v12
	v_addc_co_u32_e32 v13, vcc, v49, v13, vcc
	v_mov_b32_e32 v73, v80
	global_store_dwordx2 v[12:13], v[74:75], off
	v_lshlrev_b64 v[12:13], 3, v[72:73]
	v_mov_b32_e32 v72, v82
	v_mad_u64_u32 v[72:73], s[6:7], s9, v83, v[72:73]
	v_add_co_u32_e32 v12, vcc, v48, v12
	v_addc_co_u32_e32 v13, vcc, v49, v13, vcc
	v_mov_b32_e32 v82, v72
	global_store_dwordx2 v[12:13], v[76:77], off
	v_lshlrev_b64 v[12:13], 3, v[81:82]
	s_and_b64 s[2:3], s[2:3], exec
	v_add_co_u32_e32 v12, vcc, v48, v12
	v_addc_co_u32_e32 v13, vcc, v49, v13, vcc
	s_or_b64 s[0:1], s[0:1], s[2:3]
	global_store_dwordx2 v[12:13], v[78:79], off
.LBB0_21:
	s_or_b64 exec, exec, s[4:5]
.LBB0_22:
	s_and_saveexec_b64 s[2:3], s[0:1]
	s_cbranch_execnz .LBB0_24
; %bb.23:
	s_endpgm
.LBB0_24:
	v_mul_f32_e32 v12, v23, v1
	v_mul_f32_e32 v1, v22, v1
	v_fma_f32 v12, v22, v0, -v12
	v_fmac_f32_e32 v1, v23, v0
	v_mul_f32_e32 v0, v21, v3
	v_mul_f32_e32 v3, v20, v3
	v_fma_f32 v0, v20, v2, -v0
	v_fmac_f32_e32 v3, v21, v2
	s_waitcnt vmcnt(0)
	v_mul_f32_e32 v2, v17, v9
	v_mul_f32_e32 v9, v16, v9
	v_fma_f32 v2, v16, v8, -v2
	v_fmac_f32_e32 v9, v17, v8
	v_mul_f32_e32 v8, v19, v11
	v_mul_f32_e32 v11, v18, v11
	v_fma_f32 v8, v18, v10, -v8
	v_fmac_f32_e32 v11, v19, v10
	;; [unrolled: 4-line block ×4, first 2 shown]
	v_add_f32_e32 v6, v12, v4
	v_add_f32_e32 v13, v1, v7
	v_sub_f32_e32 v1, v1, v7
	v_add_f32_e32 v7, v0, v10
	v_sub_f32_e32 v4, v12, v4
	;; [unrolled: 2-line block ×3, first 2 shown]
	v_sub_f32_e32 v3, v3, v5
	v_add_f32_e32 v5, v2, v8
	v_add_f32_e32 v10, v9, v11
	v_sub_f32_e32 v2, v8, v2
	v_sub_f32_e32 v8, v11, v9
	v_add_f32_e32 v9, v7, v6
	v_add_f32_e32 v11, v12, v13
	v_sub_f32_e32 v16, v7, v6
	v_sub_f32_e32 v6, v6, v5
	;; [unrolled: 1-line block ×3, first 2 shown]
	v_add_f32_e32 v5, v5, v9
	v_sub_f32_e32 v17, v12, v13
	v_sub_f32_e32 v13, v13, v10
	;; [unrolled: 1-line block ×3, first 2 shown]
	v_add_f32_e32 v9, v10, v11
	v_add_f32_e32 v10, v14, v5
	v_add_f32_e32 v11, v15, v9
	v_mov_b32_e32 v22, v10
	v_add_f32_e32 v18, v2, v0
	v_sub_f32_e32 v20, v2, v0
	v_mul_f32_e32 v14, 0x3d64c772, v7
	v_mul_f32_e32 v15, 0x3d64c772, v12
	v_fmac_f32_e32 v22, 0xbf955555, v5
	v_mov_b32_e32 v5, v11
	s_mov_b32 s1, 0x3f3bfb3b
	v_add_f32_e32 v19, v8, v3
	v_sub_f32_e32 v21, v8, v3
	v_sub_f32_e32 v2, v4, v2
	;; [unrolled: 1-line block ×3, first 2 shown]
	v_add_f32_e32 v4, v18, v4
	v_mul_f32_e32 v6, 0x3f4a47b2, v6
	v_mul_f32_e32 v13, 0x3f4a47b2, v13
	;; [unrolled: 1-line block ×3, first 2 shown]
	s_mov_b32 s0, 0x3f5ff5aa
	v_fmac_f32_e32 v5, 0xbf955555, v9
	v_fma_f32 v9, v16, s1, -v14
	v_fma_f32 v14, v17, s1, -v15
	s_mov_b32 s1, 0xbf3bfb3b
	v_sub_f32_e32 v8, v1, v8
	v_sub_f32_e32 v3, v3, v1
	v_add_f32_e32 v1, v19, v1
	v_mul_f32_e32 v19, 0xbf08b237, v21
	v_mul_f32_e32 v20, 0x3f5ff5aa, v0
	v_fma_f32 v15, v16, s1, -v6
	v_fmac_f32_e32 v6, 0x3d64c772, v7
	v_fma_f32 v7, v17, s1, -v13
	v_fmac_f32_e32 v13, 0x3d64c772, v12
	v_fma_f32 v0, v0, s0, -v18
	v_mul_f32_e32 v21, 0x3f5ff5aa, v3
	v_fma_f32 v3, v3, s0, -v19
	s_mov_b32 s0, 0xbeae86e6
	v_add_f32_e32 v12, v13, v5
	v_add_f32_e32 v13, v14, v5
	v_fmac_f32_e32 v0, 0x3ee1c552, v4
	v_fmac_f32_e32 v18, 0x3eae86e6, v2
	;; [unrolled: 1-line block ×3, first 2 shown]
	v_fma_f32 v2, v2, s0, -v20
	v_fma_f32 v8, v8, s0, -v21
	v_add_f32_e32 v20, v0, v13
	v_sub_f32_e32 v13, v13, v0
	v_mul_f32_e32 v0, v31, v33
	v_add_f32_e32 v9, v9, v22
	v_fmac_f32_e32 v19, 0x3ee1c552, v1
	v_fmac_f32_e32 v3, 0x3ee1c552, v1
	;; [unrolled: 1-line block ×3, first 2 shown]
	v_fma_f32 v0, v30, v32, -v0
	v_mul_f32_e32 v1, v30, v33
	v_add_f32_e32 v5, v7, v5
	v_fmac_f32_e32 v2, 0x3ee1c552, v4
	v_sub_f32_e32 v17, v9, v3
	v_add_f32_e32 v9, v3, v9
	v_fmac_f32_e32 v1, v31, v32
	v_mul_f32_e32 v3, v0, v29
	v_sub_f32_e32 v16, v5, v2
	v_add_f32_e32 v21, v2, v5
	v_mul_f32_e32 v2, v1, v29
	v_fmac_f32_e32 v3, v28, v1
	v_fma_f32 v2, v28, v0, -v2
	v_mul_f32_e32 v0, v11, v3
	v_mul_f32_e32 v1, v10, v3
	v_fma_f32 v0, v10, v2, -v0
	v_fmac_f32_e32 v1, v11, v2
	v_mul_f32_e32 v2, v69, v71
	v_add_f32_e32 v6, v6, v22
	v_fma_f32 v2, v68, v70, -v2
	v_mul_f32_e32 v3, v68, v71
	v_fmac_f32_e32 v18, 0x3ee1c552, v4
	v_add_f32_e32 v4, v19, v6
	v_sub_f32_e32 v19, v6, v19
	v_fmac_f32_e32 v3, v69, v70
	v_mul_f32_e32 v6, v2, v67
	v_sub_f32_e32 v7, v12, v18
	v_mul_f32_e32 v5, v3, v67
	v_fmac_f32_e32 v6, v66, v3
	v_fma_f32 v5, v66, v2, -v5
	v_mul_f32_e32 v2, v7, v6
	v_fma_f32 v2, v4, v5, -v2
	v_mul_f32_e32 v3, v4, v6
	v_mul_f32_e32 v4, v63, v65
	v_fmac_f32_e32 v3, v7, v5
	v_fma_f32 v4, v62, v64, -v4
	v_mul_f32_e32 v5, v62, v65
	v_add_f32_e32 v14, v15, v22
	v_fmac_f32_e32 v5, v63, v64
	v_mul_f32_e32 v7, v4, v61
	v_add_f32_e32 v15, v8, v14
	v_mul_f32_e32 v6, v5, v61
	v_fmac_f32_e32 v7, v60, v5
	v_fma_f32 v6, v60, v4, -v6
	v_mul_f32_e32 v4, v16, v7
	v_mul_f32_e32 v5, v15, v7
	v_fma_f32 v4, v15, v6, -v4
	v_fmac_f32_e32 v5, v16, v6
	v_mul_f32_e32 v6, v57, v59
	v_fma_f32 v6, v56, v58, -v6
	v_mul_f32_e32 v7, v56, v59
	v_fmac_f32_e32 v7, v57, v58
	v_mul_f32_e32 v10, v6, v55
	v_sub_f32_e32 v14, v14, v8
	v_mul_f32_e32 v8, v7, v55
	v_fmac_f32_e32 v10, v54, v7
	v_fma_f32 v8, v54, v6, -v8
	v_mul_f32_e32 v6, v20, v10
	v_mul_f32_e32 v7, v17, v10
	v_fma_f32 v6, v17, v8, -v6
	v_fmac_f32_e32 v7, v20, v8
	v_mul_f32_e32 v8, v51, v53
	v_fma_f32 v8, v50, v52, -v8
	v_mul_f32_e32 v10, v50, v53
	v_add_f32_e32 v18, v18, v12
	v_fmac_f32_e32 v10, v51, v52
	v_mul_f32_e32 v12, v8, v47
	v_mul_f32_e32 v11, v10, v47
	v_fmac_f32_e32 v12, v46, v10
	v_fma_f32 v11, v46, v8, -v11
	v_mul_f32_e32 v8, v13, v12
	v_fma_f32 v8, v9, v11, -v8
	v_mul_f32_e32 v9, v9, v12
	v_mul_f32_e32 v10, v39, v41
	v_fmac_f32_e32 v9, v13, v11
	v_fma_f32 v10, v38, v40, -v10
	v_mul_f32_e32 v11, v38, v41
	v_fmac_f32_e32 v11, v39, v40
	v_mul_f32_e32 v13, v10, v37
	v_mul_f32_e32 v12, v11, v37
	v_fmac_f32_e32 v13, v36, v11
	v_fma_f32 v12, v36, v10, -v12
	v_mul_f32_e32 v10, v21, v13
	v_mul_f32_e32 v11, v14, v13
	;; [unrolled: 1-line block ×3, first 2 shown]
	v_fma_f32 v10, v14, v12, -v10
	v_fmac_f32_e32 v11, v21, v12
	v_mul_f32_e32 v12, v43, v45
	v_fmac_f32_e32 v15, v43, v44
	v_fma_f32 v14, v42, v44, -v12
	v_mul_f32_e32 v12, v15, v35
	v_fma_f32 v16, v34, v14, -v12
	v_mad_u64_u32 v[12:13], s[0:1], s8, v87, 0
	v_mul_f32_e32 v17, v14, v35
	v_fmac_f32_e32 v17, v34, v15
	v_mul_f32_e32 v15, v18, v17
	v_mad_u64_u32 v[13:14], s[0:1], s9, v87, v[13:14]
	v_fma_f32 v14, v19, v16, -v15
	v_mul_f32_e32 v15, v19, v17
	v_fmac_f32_e32 v15, v18, v16
	v_add_u32_e32 v18, 38, v86
	v_mad_u64_u32 v[16:17], s[0:1], s8, v18, 0
	v_add_u32_e32 v20, 62, v86
	v_lshlrev_b64 v[12:13], 3, v[12:13]
	v_mad_u64_u32 v[17:18], s[0:1], s9, v18, v[17:18]
	v_mad_u64_u32 v[18:19], s[0:1], s8, v20, 0
	v_add_co_u32_e32 v12, vcc, v48, v12
	v_addc_co_u32_e32 v13, vcc, v49, v13, vcc
	global_store_dwordx2 v[12:13], v[0:1], off
	v_mov_b32_e32 v12, v19
	v_mad_u64_u32 v[12:13], s[0:1], s9, v20, v[12:13]
	v_lshlrev_b64 v[0:1], 3, v[16:17]
	v_add_co_u32_e32 v0, vcc, v48, v0
	v_addc_co_u32_e32 v1, vcc, v49, v1, vcc
	v_mov_b32_e32 v19, v12
	v_add_u32_e32 v12, 0x56, v86
	global_store_dwordx2 v[0:1], v[2:3], off
	v_mad_u64_u32 v[2:3], s[0:1], s8, v12, 0
	v_lshlrev_b64 v[0:1], 3, v[18:19]
	v_mad_u64_u32 v[12:13], s[0:1], s9, v12, v[3:4]
	v_add_u32_e32 v13, 0x6e, v86
	v_mad_u64_u32 v[16:17], s[0:1], s8, v13, 0
	v_add_co_u32_e32 v0, vcc, v48, v0
	v_addc_co_u32_e32 v1, vcc, v49, v1, vcc
	v_mov_b32_e32 v3, v12
	global_store_dwordx2 v[0:1], v[4:5], off
	v_lshlrev_b64 v[0:1], 3, v[2:3]
	v_mov_b32_e32 v2, v17
	v_mad_u64_u32 v[2:3], s[0:1], s9, v13, v[2:3]
	v_add_u32_e32 v4, 0x86, v86
	v_add_co_u32_e32 v0, vcc, v48, v0
	v_mov_b32_e32 v17, v2
	v_mad_u64_u32 v[2:3], s[0:1], s8, v4, 0
	v_addc_co_u32_e32 v1, vcc, v49, v1, vcc
	global_store_dwordx2 v[0:1], v[6:7], off
	v_mad_u64_u32 v[3:4], s[0:1], s9, v4, v[3:4]
	v_add_u32_e32 v6, 0x9e, v86
	v_lshlrev_b64 v[0:1], 3, v[16:17]
	v_mad_u64_u32 v[4:5], s[0:1], s8, v6, 0
	v_add_co_u32_e32 v0, vcc, v48, v0
	v_addc_co_u32_e32 v1, vcc, v49, v1, vcc
	global_store_dwordx2 v[0:1], v[8:9], off
	v_lshlrev_b64 v[0:1], 3, v[2:3]
	v_mov_b32_e32 v2, v5
	v_mad_u64_u32 v[2:3], s[0:1], s9, v6, v[2:3]
	v_add_co_u32_e32 v0, vcc, v48, v0
	v_addc_co_u32_e32 v1, vcc, v49, v1, vcc
	v_mov_b32_e32 v5, v2
	global_store_dwordx2 v[0:1], v[10:11], off
	v_lshlrev_b64 v[0:1], 3, v[4:5]
	v_add_co_u32_e32 v0, vcc, v48, v0
	v_addc_co_u32_e32 v1, vcc, v49, v1, vcc
	global_store_dwordx2 v[0:1], v[14:15], off
	s_endpgm
	.section	.rodata,"a",@progbits
	.p2align	6, 0x0
	.amdhsa_kernel fft_rtc_fwd_len168_factors_2_3_4_7_wgs_196_tpt_14_dim3_sp_ip_CI_sbcc_twdbase8_3step_dirReg
		.amdhsa_group_segment_fixed_size 0
		.amdhsa_private_segment_fixed_size 0
		.amdhsa_kernarg_size 88
		.amdhsa_user_sgpr_count 6
		.amdhsa_user_sgpr_private_segment_buffer 1
		.amdhsa_user_sgpr_dispatch_ptr 0
		.amdhsa_user_sgpr_queue_ptr 0
		.amdhsa_user_sgpr_kernarg_segment_ptr 1
		.amdhsa_user_sgpr_dispatch_id 0
		.amdhsa_user_sgpr_flat_scratch_init 0
		.amdhsa_user_sgpr_private_segment_size 0
		.amdhsa_uses_dynamic_stack 0
		.amdhsa_system_sgpr_private_segment_wavefront_offset 0
		.amdhsa_system_sgpr_workgroup_id_x 1
		.amdhsa_system_sgpr_workgroup_id_y 0
		.amdhsa_system_sgpr_workgroup_id_z 0
		.amdhsa_system_sgpr_workgroup_info 0
		.amdhsa_system_vgpr_workitem_id 0
		.amdhsa_next_free_vgpr 123
		.amdhsa_next_free_sgpr 26
		.amdhsa_reserve_vcc 1
		.amdhsa_reserve_flat_scratch 0
		.amdhsa_float_round_mode_32 0
		.amdhsa_float_round_mode_16_64 0
		.amdhsa_float_denorm_mode_32 3
		.amdhsa_float_denorm_mode_16_64 3
		.amdhsa_dx10_clamp 1
		.amdhsa_ieee_mode 1
		.amdhsa_fp16_overflow 0
		.amdhsa_exception_fp_ieee_invalid_op 0
		.amdhsa_exception_fp_denorm_src 0
		.amdhsa_exception_fp_ieee_div_zero 0
		.amdhsa_exception_fp_ieee_overflow 0
		.amdhsa_exception_fp_ieee_underflow 0
		.amdhsa_exception_fp_ieee_inexact 0
		.amdhsa_exception_int_div_zero 0
	.end_amdhsa_kernel
	.text
.Lfunc_end0:
	.size	fft_rtc_fwd_len168_factors_2_3_4_7_wgs_196_tpt_14_dim3_sp_ip_CI_sbcc_twdbase8_3step_dirReg, .Lfunc_end0-fft_rtc_fwd_len168_factors_2_3_4_7_wgs_196_tpt_14_dim3_sp_ip_CI_sbcc_twdbase8_3step_dirReg
                                        ; -- End function
	.section	.AMDGPU.csdata,"",@progbits
; Kernel info:
; codeLenInByte = 9032
; NumSgprs: 30
; NumVgprs: 123
; ScratchSize: 0
; MemoryBound: 0
; FloatMode: 240
; IeeeMode: 1
; LDSByteSize: 0 bytes/workgroup (compile time only)
; SGPRBlocks: 3
; VGPRBlocks: 30
; NumSGPRsForWavesPerEU: 30
; NumVGPRsForWavesPerEU: 123
; Occupancy: 2
; WaveLimiterHint : 1
; COMPUTE_PGM_RSRC2:SCRATCH_EN: 0
; COMPUTE_PGM_RSRC2:USER_SGPR: 6
; COMPUTE_PGM_RSRC2:TRAP_HANDLER: 0
; COMPUTE_PGM_RSRC2:TGID_X_EN: 1
; COMPUTE_PGM_RSRC2:TGID_Y_EN: 0
; COMPUTE_PGM_RSRC2:TGID_Z_EN: 0
; COMPUTE_PGM_RSRC2:TIDIG_COMP_CNT: 0
	.type	__hip_cuid_45068f3f383e9c7,@object ; @__hip_cuid_45068f3f383e9c7
	.section	.bss,"aw",@nobits
	.globl	__hip_cuid_45068f3f383e9c7
__hip_cuid_45068f3f383e9c7:
	.byte	0                               ; 0x0
	.size	__hip_cuid_45068f3f383e9c7, 1

	.ident	"AMD clang version 19.0.0git (https://github.com/RadeonOpenCompute/llvm-project roc-6.4.0 25133 c7fe45cf4b819c5991fe208aaa96edf142730f1d)"
	.section	".note.GNU-stack","",@progbits
	.addrsig
	.addrsig_sym __hip_cuid_45068f3f383e9c7
	.amdgpu_metadata
---
amdhsa.kernels:
  - .args:
      - .actual_access:  read_only
        .address_space:  global
        .offset:         0
        .size:           8
        .value_kind:     global_buffer
      - .address_space:  global
        .offset:         8
        .size:           8
        .value_kind:     global_buffer
      - .actual_access:  read_only
        .address_space:  global
        .offset:         16
        .size:           8
        .value_kind:     global_buffer
      - .actual_access:  read_only
        .address_space:  global
        .offset:         24
        .size:           8
        .value_kind:     global_buffer
      - .offset:         32
        .size:           8
        .value_kind:     by_value
      - .actual_access:  read_only
        .address_space:  global
        .offset:         40
        .size:           8
        .value_kind:     global_buffer
      - .actual_access:  read_only
        .address_space:  global
        .offset:         48
        .size:           8
        .value_kind:     global_buffer
      - .offset:         56
        .size:           4
        .value_kind:     by_value
      - .actual_access:  read_only
        .address_space:  global
        .offset:         64
        .size:           8
        .value_kind:     global_buffer
      - .actual_access:  read_only
        .address_space:  global
        .offset:         72
        .size:           8
        .value_kind:     global_buffer
      - .address_space:  global
        .offset:         80
        .size:           8
        .value_kind:     global_buffer
    .group_segment_fixed_size: 0
    .kernarg_segment_align: 8
    .kernarg_segment_size: 88
    .language:       OpenCL C
    .language_version:
      - 2
      - 0
    .max_flat_workgroup_size: 196
    .name:           fft_rtc_fwd_len168_factors_2_3_4_7_wgs_196_tpt_14_dim3_sp_ip_CI_sbcc_twdbase8_3step_dirReg
    .private_segment_fixed_size: 0
    .sgpr_count:     30
    .sgpr_spill_count: 0
    .symbol:         fft_rtc_fwd_len168_factors_2_3_4_7_wgs_196_tpt_14_dim3_sp_ip_CI_sbcc_twdbase8_3step_dirReg.kd
    .uniform_work_group_size: 1
    .uses_dynamic_stack: false
    .vgpr_count:     123
    .vgpr_spill_count: 0
    .wavefront_size: 64
amdhsa.target:   amdgcn-amd-amdhsa--gfx906
amdhsa.version:
  - 1
  - 2
...

	.end_amdgpu_metadata
